;; amdgpu-corpus repo=ROCm/rocFFT kind=compiled arch=gfx906 opt=O3
	.text
	.amdgcn_target "amdgcn-amd-amdhsa--gfx906"
	.amdhsa_code_object_version 6
	.protected	fft_rtc_fwd_len2028_factors_13_4_3_13_wgs_156_tpt_156_half_ip_CI_unitstride_sbrr_dirReg ; -- Begin function fft_rtc_fwd_len2028_factors_13_4_3_13_wgs_156_tpt_156_half_ip_CI_unitstride_sbrr_dirReg
	.globl	fft_rtc_fwd_len2028_factors_13_4_3_13_wgs_156_tpt_156_half_ip_CI_unitstride_sbrr_dirReg
	.p2align	8
	.type	fft_rtc_fwd_len2028_factors_13_4_3_13_wgs_156_tpt_156_half_ip_CI_unitstride_sbrr_dirReg,@function
fft_rtc_fwd_len2028_factors_13_4_3_13_wgs_156_tpt_156_half_ip_CI_unitstride_sbrr_dirReg: ; @fft_rtc_fwd_len2028_factors_13_4_3_13_wgs_156_tpt_156_half_ip_CI_unitstride_sbrr_dirReg
; %bb.0:
	s_load_dwordx2 s[2:3], s[4:5], 0x50
	s_load_dwordx4 s[8:11], s[4:5], 0x0
	s_load_dwordx2 s[12:13], s[4:5], 0x18
	v_mul_u32_u24_e32 v1, 0x1a5, v0
	v_add_u32_sdwa v5, s6, v1 dst_sel:DWORD dst_unused:UNUSED_PAD src0_sel:DWORD src1_sel:WORD_1
	v_mov_b32_e32 v3, 0
	s_waitcnt lgkmcnt(0)
	v_cmp_lt_u64_e64 s[0:1], s[10:11], 2
	v_mov_b32_e32 v1, 0
	v_mov_b32_e32 v6, v3
	s_and_b64 vcc, exec, s[0:1]
	v_mov_b32_e32 v2, 0
	s_cbranch_vccnz .LBB0_8
; %bb.1:
	s_load_dwordx2 s[0:1], s[4:5], 0x10
	s_add_u32 s6, s12, 8
	s_addc_u32 s7, s13, 0
	v_mov_b32_e32 v1, 0
	v_mov_b32_e32 v2, 0
	s_waitcnt lgkmcnt(0)
	s_add_u32 s14, s0, 8
	s_addc_u32 s15, s1, 0
	s_mov_b64 s[16:17], 1
.LBB0_2:                                ; =>This Inner Loop Header: Depth=1
	s_load_dwordx2 s[18:19], s[14:15], 0x0
                                        ; implicit-def: $vgpr7_vgpr8
	s_waitcnt lgkmcnt(0)
	v_or_b32_e32 v4, s19, v6
	v_cmp_ne_u64_e32 vcc, 0, v[3:4]
	s_and_saveexec_b64 s[0:1], vcc
	s_xor_b64 s[20:21], exec, s[0:1]
	s_cbranch_execz .LBB0_4
; %bb.3:                                ;   in Loop: Header=BB0_2 Depth=1
	v_cvt_f32_u32_e32 v4, s18
	v_cvt_f32_u32_e32 v7, s19
	s_sub_u32 s0, 0, s18
	s_subb_u32 s1, 0, s19
	v_mac_f32_e32 v4, 0x4f800000, v7
	v_rcp_f32_e32 v4, v4
	v_mul_f32_e32 v4, 0x5f7ffffc, v4
	v_mul_f32_e32 v7, 0x2f800000, v4
	v_trunc_f32_e32 v7, v7
	v_mac_f32_e32 v4, 0xcf800000, v7
	v_cvt_u32_f32_e32 v7, v7
	v_cvt_u32_f32_e32 v4, v4
	v_mul_lo_u32 v8, s0, v7
	v_mul_hi_u32 v9, s0, v4
	v_mul_lo_u32 v11, s1, v4
	v_mul_lo_u32 v10, s0, v4
	v_add_u32_e32 v8, v9, v8
	v_add_u32_e32 v8, v8, v11
	v_mul_hi_u32 v9, v4, v10
	v_mul_lo_u32 v11, v4, v8
	v_mul_hi_u32 v13, v4, v8
	v_mul_hi_u32 v12, v7, v10
	v_mul_lo_u32 v10, v7, v10
	v_mul_hi_u32 v14, v7, v8
	v_add_co_u32_e32 v9, vcc, v9, v11
	v_addc_co_u32_e32 v11, vcc, 0, v13, vcc
	v_mul_lo_u32 v8, v7, v8
	v_add_co_u32_e32 v9, vcc, v9, v10
	v_addc_co_u32_e32 v9, vcc, v11, v12, vcc
	v_addc_co_u32_e32 v10, vcc, 0, v14, vcc
	v_add_co_u32_e32 v8, vcc, v9, v8
	v_addc_co_u32_e32 v9, vcc, 0, v10, vcc
	v_add_co_u32_e32 v4, vcc, v4, v8
	v_addc_co_u32_e32 v7, vcc, v7, v9, vcc
	v_mul_lo_u32 v8, s0, v7
	v_mul_hi_u32 v9, s0, v4
	v_mul_lo_u32 v10, s1, v4
	v_mul_lo_u32 v11, s0, v4
	v_add_u32_e32 v8, v9, v8
	v_add_u32_e32 v8, v8, v10
	v_mul_lo_u32 v12, v4, v8
	v_mul_hi_u32 v13, v4, v11
	v_mul_hi_u32 v14, v4, v8
	;; [unrolled: 1-line block ×3, first 2 shown]
	v_mul_lo_u32 v11, v7, v11
	v_mul_hi_u32 v9, v7, v8
	v_add_co_u32_e32 v12, vcc, v13, v12
	v_addc_co_u32_e32 v13, vcc, 0, v14, vcc
	v_mul_lo_u32 v8, v7, v8
	v_add_co_u32_e32 v11, vcc, v12, v11
	v_addc_co_u32_e32 v10, vcc, v13, v10, vcc
	v_addc_co_u32_e32 v9, vcc, 0, v9, vcc
	v_add_co_u32_e32 v8, vcc, v10, v8
	v_addc_co_u32_e32 v9, vcc, 0, v9, vcc
	v_add_co_u32_e32 v4, vcc, v4, v8
	v_addc_co_u32_e32 v9, vcc, v7, v9, vcc
	v_mad_u64_u32 v[7:8], s[0:1], v5, v9, 0
	v_mul_hi_u32 v10, v5, v4
	v_add_co_u32_e32 v11, vcc, v10, v7
	v_addc_co_u32_e32 v12, vcc, 0, v8, vcc
	v_mad_u64_u32 v[7:8], s[0:1], v6, v4, 0
	v_mad_u64_u32 v[9:10], s[0:1], v6, v9, 0
	v_add_co_u32_e32 v4, vcc, v11, v7
	v_addc_co_u32_e32 v4, vcc, v12, v8, vcc
	v_addc_co_u32_e32 v7, vcc, 0, v10, vcc
	v_add_co_u32_e32 v4, vcc, v4, v9
	v_addc_co_u32_e32 v9, vcc, 0, v7, vcc
	v_mul_lo_u32 v10, s19, v4
	v_mul_lo_u32 v11, s18, v9
	v_mad_u64_u32 v[7:8], s[0:1], s18, v4, 0
	v_add3_u32 v8, v8, v11, v10
	v_sub_u32_e32 v10, v6, v8
	v_mov_b32_e32 v11, s19
	v_sub_co_u32_e32 v7, vcc, v5, v7
	v_subb_co_u32_e64 v10, s[0:1], v10, v11, vcc
	v_subrev_co_u32_e64 v11, s[0:1], s18, v7
	v_subbrev_co_u32_e64 v10, s[0:1], 0, v10, s[0:1]
	v_cmp_le_u32_e64 s[0:1], s19, v10
	v_cndmask_b32_e64 v12, 0, -1, s[0:1]
	v_cmp_le_u32_e64 s[0:1], s18, v11
	v_cndmask_b32_e64 v11, 0, -1, s[0:1]
	v_cmp_eq_u32_e64 s[0:1], s19, v10
	v_cndmask_b32_e64 v10, v12, v11, s[0:1]
	v_add_co_u32_e64 v11, s[0:1], 2, v4
	v_addc_co_u32_e64 v12, s[0:1], 0, v9, s[0:1]
	v_add_co_u32_e64 v13, s[0:1], 1, v4
	v_addc_co_u32_e64 v14, s[0:1], 0, v9, s[0:1]
	v_subb_co_u32_e32 v8, vcc, v6, v8, vcc
	v_cmp_ne_u32_e64 s[0:1], 0, v10
	v_cmp_le_u32_e32 vcc, s19, v8
	v_cndmask_b32_e64 v10, v14, v12, s[0:1]
	v_cndmask_b32_e64 v12, 0, -1, vcc
	v_cmp_le_u32_e32 vcc, s18, v7
	v_cndmask_b32_e64 v7, 0, -1, vcc
	v_cmp_eq_u32_e32 vcc, s19, v8
	v_cndmask_b32_e32 v7, v12, v7, vcc
	v_cmp_ne_u32_e32 vcc, 0, v7
	v_cndmask_b32_e64 v7, v13, v11, s[0:1]
	v_cndmask_b32_e32 v8, v9, v10, vcc
	v_cndmask_b32_e32 v7, v4, v7, vcc
.LBB0_4:                                ;   in Loop: Header=BB0_2 Depth=1
	s_andn2_saveexec_b64 s[0:1], s[20:21]
	s_cbranch_execz .LBB0_6
; %bb.5:                                ;   in Loop: Header=BB0_2 Depth=1
	v_cvt_f32_u32_e32 v4, s18
	s_sub_i32 s20, 0, s18
	v_rcp_iflag_f32_e32 v4, v4
	v_mul_f32_e32 v4, 0x4f7ffffe, v4
	v_cvt_u32_f32_e32 v4, v4
	v_mul_lo_u32 v7, s20, v4
	v_mul_hi_u32 v7, v4, v7
	v_add_u32_e32 v4, v4, v7
	v_mul_hi_u32 v4, v5, v4
	v_mul_lo_u32 v7, v4, s18
	v_add_u32_e32 v8, 1, v4
	v_sub_u32_e32 v7, v5, v7
	v_subrev_u32_e32 v9, s18, v7
	v_cmp_le_u32_e32 vcc, s18, v7
	v_cndmask_b32_e32 v7, v7, v9, vcc
	v_cndmask_b32_e32 v4, v4, v8, vcc
	v_add_u32_e32 v8, 1, v4
	v_cmp_le_u32_e32 vcc, s18, v7
	v_cndmask_b32_e32 v7, v4, v8, vcc
	v_mov_b32_e32 v8, v3
.LBB0_6:                                ;   in Loop: Header=BB0_2 Depth=1
	s_or_b64 exec, exec, s[0:1]
	v_mul_lo_u32 v4, v8, s18
	v_mul_lo_u32 v11, v7, s19
	v_mad_u64_u32 v[9:10], s[0:1], v7, s18, 0
	s_load_dwordx2 s[0:1], s[6:7], 0x0
	s_add_u32 s16, s16, 1
	v_add3_u32 v4, v10, v11, v4
	v_sub_co_u32_e32 v5, vcc, v5, v9
	v_subb_co_u32_e32 v4, vcc, v6, v4, vcc
	s_waitcnt lgkmcnt(0)
	v_mul_lo_u32 v4, s0, v4
	v_mul_lo_u32 v6, s1, v5
	v_mad_u64_u32 v[1:2], s[0:1], s0, v5, v[1:2]
	s_addc_u32 s17, s17, 0
	s_add_u32 s6, s6, 8
	v_add3_u32 v2, v6, v2, v4
	v_mov_b32_e32 v4, s10
	v_mov_b32_e32 v5, s11
	s_addc_u32 s7, s7, 0
	v_cmp_ge_u64_e32 vcc, s[16:17], v[4:5]
	s_add_u32 s14, s14, 8
	s_addc_u32 s15, s15, 0
	s_cbranch_vccnz .LBB0_9
; %bb.7:                                ;   in Loop: Header=BB0_2 Depth=1
	v_mov_b32_e32 v5, v7
	v_mov_b32_e32 v6, v8
	s_branch .LBB0_2
.LBB0_8:
	v_mov_b32_e32 v8, v6
	v_mov_b32_e32 v7, v5
.LBB0_9:
	s_lshl_b64 s[0:1], s[10:11], 3
	s_add_u32 s0, s12, s0
	s_addc_u32 s1, s13, s1
	s_load_dwordx2 s[6:7], s[0:1], 0x0
	s_load_dwordx2 s[10:11], s[4:5], 0x20
	v_mov_b32_e32 v23, 0
                                        ; implicit-def: $vgpr28
                                        ; implicit-def: $vgpr27
                                        ; implicit-def: $vgpr24
                                        ; implicit-def: $vgpr22
                                        ; implicit-def: $vgpr19
                                        ; implicit-def: $vgpr18
                                        ; implicit-def: $vgpr16
                                        ; implicit-def: $vgpr14
                                        ; implicit-def: $vgpr12
                                        ; implicit-def: $vgpr10
                                        ; implicit-def: $vgpr6
                                        ; implicit-def: $vgpr9
                                        ; implicit-def: $vgpr13
                                        ; implicit-def: $vgpr11
                                        ; implicit-def: $vgpr17
                                        ; implicit-def: $vgpr15
                                        ; implicit-def: $vgpr21
                                        ; implicit-def: $vgpr20
                                        ; implicit-def: $vgpr26
                                        ; implicit-def: $vgpr25
                                        ; implicit-def: $vgpr30
                                        ; implicit-def: $vgpr29
	s_waitcnt lgkmcnt(0)
	v_mad_u64_u32 v[1:2], s[0:1], s6, v7, v[1:2]
	s_mov_b32 s0, 0x1a41a42
	v_mul_lo_u32 v3, s6, v8
	v_mul_lo_u32 v4, s7, v7
	v_mul_hi_u32 v5, v0, s0
	v_cmp_gt_u64_e32 vcc, s[10:11], v[7:8]
                                        ; implicit-def: $vgpr8
                                        ; implicit-def: $vgpr7
	v_add3_u32 v2, v4, v2, v3
	v_mul_u32_u24_e32 v3, 0x9c, v5
	v_sub_u32_e32 v4, v0, v3
	v_lshlrev_b64 v[0:1], 2, v[1:2]
	v_mov_b32_e32 v2, 0
	v_mov_b32_e32 v3, 0
	s_and_saveexec_b64 s[4:5], vcc
	s_cbranch_execz .LBB0_11
; %bb.10:
	v_mov_b32_e32 v5, 0
	v_mov_b32_e32 v2, s3
	v_add_co_u32_e64 v6, s[0:1], s2, v0
	v_addc_co_u32_e64 v7, s[0:1], v2, v1, s[0:1]
	v_lshlrev_b64 v[2:3], 2, v[4:5]
	v_add_co_u32_e64 v2, s[0:1], v6, v2
	v_addc_co_u32_e64 v3, s[0:1], v7, v3, s[0:1]
	s_movk_i32 s0, 0x1000
	v_add_co_u32_e64 v8, s[0:1], s0, v2
	v_addc_co_u32_e64 v9, s[0:1], 0, v3, s[0:1]
	global_load_dword v27, v[2:3], off offset:624
	global_load_dword v22, v[2:3], off offset:1248
	;; [unrolled: 1-line block ×12, first 2 shown]
	global_load_dword v23, v[2:3], off
	v_mov_b32_e32 v2, v4
	v_mov_b32_e32 v3, v5
	s_waitcnt vmcnt(12)
	v_lshrrev_b32_e32 v28, 16, v27
	s_waitcnt vmcnt(11)
	v_lshrrev_b32_e32 v24, 16, v22
	;; [unrolled: 2-line block ×12, first 2 shown]
.LBB0_11:
	s_or_b64 exec, exec, s[4:5]
	s_waitcnt vmcnt(0)
	v_add_f16_e32 v5, v27, v23
	v_add_f16_sdwa v31, v28, v23 dst_sel:DWORD dst_unused:UNUSED_PAD src0_sel:DWORD src1_sel:WORD_1
	v_add_f16_e32 v5, v22, v5
	v_add_f16_e32 v31, v24, v31
	;; [unrolled: 1-line block ×21, first 2 shown]
	v_add_f16_sdwa v31, v30, v31 dst_sel:WORD_1 dst_unused:UNUSED_PAD src0_sel:DWORD src1_sel:DWORD
	v_or_b32_e32 v5, v31, v5
	v_add_f16_e32 v31, v27, v29
	v_sub_f16_e32 v27, v27, v29
	v_add_f16_e32 v29, v28, v30
	v_sub_f16_e32 v28, v28, v30
	s_movk_i32 s5, 0x3770
	s_mov_b32 s7, 0xb770
	v_mul_f16_e32 v30, 0x3b15, v31
	s_movk_i32 s1, 0x3a95
	s_mov_b32 s6, 0xba95
	v_mul_f16_e32 v33, 0x388b, v31
	;; [unrolled: 3-line block ×5, first 2 shown]
	v_mul_f16_e32 v31, 0xbbc4, v31
	s_movk_i32 s20, 0x33a8
	s_mov_b32 s19, 0xb3a8
	v_fma_f16 v32, v28, s5, v30
	v_fma_f16 v30, v28, s7, v30
	;; [unrolled: 1-line block ×12, first 2 shown]
	s_movk_i32 s17, 0x3b15
	v_mul_f16_e32 v31, 0xb770, v27
	s_movk_i32 s16, 0x388b
	v_mul_f16_e32 v43, 0xba95, v27
	;; [unrolled: 2-line block ×3, first 2 shown]
	s_mov_b32 s15, 0xb5ac
	v_mul_f16_e32 v47, 0xbb7b, v27
	s_mov_b32 s18, 0xb9fd
	v_mul_f16_e32 v49, 0xb94e, v27
	;; [unrolled: 2-line block ×3, first 2 shown]
	v_fma_f16 v42, v29, s17, v31
	v_fma_f16 v31, v29, s17, -v31
	v_fma_f16 v44, v29, s16, v43
	v_fma_f16 v43, v29, s16, -v43
	;; [unrolled: 2-line block ×6, first 2 shown]
	v_add_f16_e32 v29, v32, v23
	v_add_f16_sdwa v32, v42, v23 dst_sel:DWORD dst_unused:UNUSED_PAD src0_sel:DWORD src1_sel:WORD_1
	v_add_f16_e32 v30, v30, v23
	v_add_f16_sdwa v31, v31, v23 dst_sel:DWORD dst_unused:UNUSED_PAD src0_sel:DWORD src1_sel:WORD_1
	;; [unrolled: 2-line block ×12, first 2 shown]
	v_add_f16_e32 v27, v22, v25
	v_sub_f16_e32 v22, v22, v25
	v_add_f16_e32 v25, v24, v26
	v_sub_f16_e32 v24, v24, v26
	v_mul_f16_e32 v26, 0x388b, v27
	v_fma_f16 v51, v24, s1, v26
	v_add_f16_e32 v29, v51, v29
	v_mul_f16_e32 v51, 0xba95, v22
	v_fma_f16 v26, v24, s6, v26
	v_add_f16_e32 v26, v26, v30
	v_fma_f16 v30, v25, s16, -v51
	v_add_f16_e32 v30, v30, v31
	v_mul_f16_e32 v31, 0xb5ac, v27
	v_fma_f16 v52, v25, s16, v51
	v_fma_f16 v51, v24, s11, v31
	v_add_f16_e32 v34, v51, v34
	v_mul_f16_e32 v51, 0xbb7b, v22
	v_fma_f16 v31, v24, s10, v31
	v_add_f16_e32 v31, v31, v33
	v_fma_f16 v33, v25, s15, -v51
	v_add_f16_e32 v33, v33, v43
	v_mul_f16_e32 v43, 0xbbc4, v27
	v_add_f16_e32 v32, v52, v32
	v_fma_f16 v52, v25, s15, v51
	v_fma_f16 v51, v24, s20, v43
	v_add_f16_e32 v36, v51, v36
	v_mul_f16_e32 v51, 0xb3a8, v22
	v_fma_f16 v43, v24, s19, v43
	v_add_f16_e32 v35, v43, v35
	v_fma_f16 v43, v25, s21, -v51
	v_add_f16_e32 v43, v43, v45
	v_mul_f16_e32 v45, 0xb9fd, v27
	v_add_f16_e32 v42, v52, v42
	;; [unrolled: 10-line block ×3, first 2 shown]
	v_fma_f16 v52, v25, s18, v51
	v_fma_f16 v51, v24, s4, v47
	v_add_f16_e32 v40, v51, v40
	v_mul_f16_e32 v51, 0x3bf1, v22
	v_fma_f16 v47, v24, s0, v47
	v_add_f16_e32 v39, v47, v39
	v_fma_f16 v47, v25, s12, -v51
	v_mul_f16_e32 v27, 0x3b15, v27
	v_add_f16_e32 v47, v47, v49
	v_fma_f16 v49, v24, s7, v27
	v_mul_f16_e32 v22, 0x3770, v22
	v_add_f16_e32 v41, v49, v41
	v_fma_f16 v49, v25, s17, v22
	v_fma_f16 v22, v25, s17, -v22
	v_add_f16_e32 v22, v22, v23
	v_add_f16_e32 v23, v18, v20
	v_sub_f16_e32 v18, v18, v20
	v_add_f16_e32 v20, v19, v21
	v_sub_f16_e32 v19, v19, v21
	v_mul_f16_e32 v21, 0x2fb7, v23
	v_add_f16_e32 v46, v52, v46
	v_fma_f16 v52, v25, s12, v51
	v_fma_f16 v24, v24, s5, v27
	;; [unrolled: 1-line block ×3, first 2 shown]
	v_mul_f16_e32 v27, 0xbbf1, v18
	v_fma_f16 v21, v19, s4, v21
	v_add_f16_e32 v24, v24, v28
	v_fma_f16 v28, v20, s12, v27
	v_add_f16_e32 v21, v21, v26
	v_fma_f16 v26, v20, s12, -v27
	v_mul_f16_e32 v27, 0xbbc4, v23
	v_add_f16_e32 v25, v25, v29
	v_add_f16_e32 v26, v26, v30
	v_fma_f16 v29, v19, s20, v27
	v_mul_f16_e32 v30, 0xb3a8, v18
	v_fma_f16 v27, v19, s19, v27
	v_add_f16_e32 v28, v28, v32
	v_fma_f16 v32, v20, s21, v30
	v_add_f16_e32 v27, v27, v31
	v_fma_f16 v30, v20, s21, -v30
	v_mul_f16_e32 v31, 0xb5ac, v23
	v_add_f16_e32 v30, v30, v33
	v_fma_f16 v33, v19, s10, v31
	v_fma_f16 v31, v19, s11, v31
	v_add_f16_e32 v31, v31, v35
	v_mul_f16_e32 v35, 0x3b15, v23
	v_add_f16_e32 v29, v29, v34
	v_add_f16_e32 v32, v32, v42
	v_mul_f16_e32 v34, 0x3b7b, v18
	v_fma_f16 v42, v19, s7, v35
	v_add_f16_e32 v33, v33, v36
	v_fma_f16 v36, v20, s15, v34
	v_fma_f16 v34, v20, s15, -v34
	v_add_f16_e32 v38, v42, v38
	v_mul_f16_e32 v42, 0x3770, v18
	v_fma_f16 v35, v19, s5, v35
	v_add_f16_e32 v34, v34, v43
	v_fma_f16 v43, v20, s17, v42
	v_add_f16_e32 v35, v35, v37
	v_fma_f16 v37, v20, s17, -v42
	v_mul_f16_e32 v42, 0x388b, v23
	v_add_f16_e32 v36, v36, v44
	v_fma_f16 v44, v19, s1, v42
	v_add_f16_e32 v40, v44, v40
	v_mul_f16_e32 v44, 0xba95, v18
	v_fma_f16 v42, v19, s6, v42
	v_mul_f16_e32 v23, 0xb9fd, v23
	v_add_f16_e32 v37, v37, v45
	v_fma_f16 v45, v20, s16, v44
	v_add_f16_e32 v39, v42, v39
	v_fma_f16 v42, v20, s16, -v44
	v_fma_f16 v44, v19, s14, v23
	v_mul_f16_e32 v18, 0xb94e, v18
	v_add_f16_e32 v41, v44, v41
	v_fma_f16 v44, v20, s18, v18
	v_fma_f16 v18, v20, s18, -v18
	v_add_f16_e32 v20, v14, v15
	v_sub_f16_e32 v14, v14, v15
	v_add_f16_e32 v15, v16, v17
	v_sub_f16_e32 v16, v16, v17
	v_mul_f16_e32 v17, 0xb5ac, v20
	v_fma_f16 v19, v19, s13, v23
	v_add_f16_e32 v18, v18, v22
	v_fma_f16 v22, v16, s11, v17
	v_mul_f16_e32 v23, 0xbb7b, v14
	v_fma_f16 v17, v16, s10, v17
	v_add_f16_e32 v19, v19, v24
	v_fma_f16 v24, v15, s15, v23
	v_add_f16_e32 v17, v17, v21
	v_fma_f16 v21, v15, s15, -v23
	v_mul_f16_e32 v23, 0xb9fd, v20
	v_add_f16_e32 v22, v22, v25
	v_add_f16_e32 v21, v21, v26
	v_fma_f16 v25, v16, s13, v23
	v_mul_f16_e32 v26, 0x394e, v14
	v_fma_f16 v23, v16, s14, v23
	v_add_f16_e32 v24, v24, v28
	v_fma_f16 v28, v15, s18, v26
	v_add_f16_e32 v23, v23, v27
	v_fma_f16 v26, v15, s18, -v26
	v_mul_f16_e32 v27, 0x3b15, v20
	v_add_f16_e32 v25, v25, v29
	;; [unrolled: 10-line block ×4, first 2 shown]
	v_fma_f16 v37, v16, s19, v35
	v_fma_f16 v35, v16, s20, v35
	v_mul_f16_e32 v20, 0x388b, v20
	v_add_f16_e32 v33, v33, v38
	v_mul_f16_e32 v38, 0x33a8, v14
	v_add_f16_e32 v35, v35, v39
	v_fma_f16 v39, v16, s6, v20
	v_mul_f16_e32 v14, 0x3a95, v14
	v_add_f16_e32 v37, v37, v40
	v_fma_f16 v40, v15, s21, v38
	v_fma_f16 v38, v15, s21, -v38
	v_add_f16_e32 v39, v39, v41
	v_fma_f16 v41, v15, s16, v14
	v_fma_f16 v14, v15, s16, -v14
	v_add_f16_e32 v15, v10, v11
	v_fma_f16 v16, v16, s1, v20
	v_sub_f16_e32 v10, v10, v11
	v_add_f16_e32 v11, v12, v13
	v_sub_f16_e32 v12, v12, v13
	v_mul_f16_e32 v13, 0xb9fd, v15
	v_add_f16_e32 v16, v16, v19
	v_add_f16_e32 v14, v14, v18
	v_fma_f16 v18, v12, s14, v13
	v_mul_f16_e32 v19, 0xb94e, v10
	v_fma_f16 v13, v12, s13, v13
	v_fma_f16 v20, v11, s18, v19
	v_add_f16_e32 v13, v13, v17
	v_fma_f16 v17, v11, s18, -v19
	v_mul_f16_e32 v19, 0x2fb7, v15
	v_add_f16_e32 v17, v17, v21
	v_fma_f16 v21, v12, s4, v19
	v_add_f16_e32 v20, v20, v24
	v_add_f16_e32 v24, v21, v25
	v_mul_f16_e32 v21, 0x3bf1, v10
	v_add_f16_e32 v18, v18, v22
	v_fma_f16 v22, v11, s12, v21
	v_fma_f16 v19, v12, s0, v19
	v_fma_f16 v21, v11, s12, -v21
	v_add_f16_e32 v19, v19, v23
	v_add_f16_e32 v23, v21, v26
	v_mul_f16_e32 v21, 0x388b, v15
	v_add_f16_e32 v25, v22, v28
	v_fma_f16 v22, v12, s1, v21
	v_add_f16_e32 v26, v22, v29
	v_mul_f16_e32 v22, 0xba95, v10
	v_fma_f16 v21, v12, s6, v21
	v_add_f16_e32 v27, v21, v27
	v_fma_f16 v21, v11, s16, -v22
	v_add_f16_e32 v29, v21, v30
	v_mul_f16_e32 v21, 0xbbc4, v15
	v_fma_f16 v28, v11, s16, v22
	v_fma_f16 v22, v12, s19, v21
	v_add_f16_e32 v30, v22, v33
	v_mul_f16_e32 v22, 0x33a8, v10
	v_fma_f16 v21, v12, s20, v21
	v_add_f16_e32 v31, v21, v31
	v_fma_f16 v21, v11, s21, -v22
	v_add_f16_e32 v33, v21, v34
	v_mul_f16_e32 v21, 0x3b15, v15
	v_add_f16_e32 v28, v28, v32
	v_fma_f16 v32, v11, s21, v22
	v_fma_f16 v22, v12, s7, v21
	v_add_f16_e32 v42, v42, v47
	v_add_f16_e32 v34, v22, v37
	v_mul_f16_e32 v22, 0x3770, v10
	v_fma_f16 v21, v12, s5, v21
	v_add_f16_e32 v43, v43, v46
	v_add_f16_e32 v38, v38, v42
	;; [unrolled: 1-line block ×3, first 2 shown]
	v_fma_f16 v21, v11, s17, -v22
	v_mul_f16_e32 v15, 0xb5ac, v15
	v_add_f16_e32 v36, v36, v43
	v_add_f16_e32 v37, v21, v38
	v_fma_f16 v21, v12, s11, v15
	v_mul_f16_e32 v10, 0xbb7b, v10
	v_add_f16_e32 v49, v49, v50
	v_add_f16_e32 v32, v32, v36
	v_fma_f16 v36, v11, s17, v22
	v_add_f16_e32 v38, v21, v39
	v_fma_f16 v21, v11, s15, v10
	v_fma_f16 v10, v11, s15, -v10
	v_add_f16_e32 v11, v6, v7
	v_add_f16_e32 v44, v44, v49
	v_sub_f16_e32 v6, v6, v7
	v_add_f16_e32 v7, v8, v9
	v_sub_f16_e32 v8, v8, v9
	v_mul_f16_e32 v9, 0xbbc4, v11
	v_add_f16_e32 v41, v41, v44
	v_fma_f16 v12, v12, s10, v15
	v_add_f16_e32 v10, v10, v14
	v_fma_f16 v14, v8, s20, v9
	v_mul_f16_e32 v15, 0xb3a8, v6
	v_fma_f16 v9, v8, s19, v9
	v_add_f16_e32 v39, v21, v41
	v_add_f16_e32 v21, v9, v13
	v_fma_f16 v9, v7, s21, -v15
	v_add_f16_e32 v22, v9, v17
	v_mul_f16_e32 v9, 0x3b15, v11
	v_add_f16_e32 v12, v12, v16
	v_add_f16_e32 v14, v14, v18
	v_fma_f16 v16, v7, s21, v15
	v_fma_f16 v13, v8, s7, v9
	v_mul_f16_e32 v15, 0x3770, v6
	v_fma_f16 v9, v8, s5, v9
	v_mul_f16_e32 v18, 0xb9fd, v11
	v_add_f16_e32 v13, v13, v24
	v_fma_f16 v17, v7, s17, v15
	v_add_f16_e32 v9, v9, v19
	v_fma_f16 v19, v8, s14, v18
	v_mul_f16_e32 v24, 0x388b, v11
	v_add_f16_e32 v48, v52, v48
	v_add_f16_e32 v16, v16, v20
	;; [unrolled: 1-line block ×3, first 2 shown]
	v_fma_f16 v15, v7, s17, -v15
	v_add_f16_e32 v19, v19, v26
	v_mul_f16_e32 v20, 0xb94e, v6
	v_fma_f16 v18, v8, s13, v18
	v_fma_f16 v25, v8, s6, v24
	v_mul_f16_e32 v26, 0x3a95, v6
	v_add_f16_e32 v45, v45, v48
	v_add_f16_e32 v15, v15, v23
	v_fma_f16 v23, v7, s18, v20
	v_add_f16_e32 v18, v18, v27
	v_add_f16_e32 v25, v25, v30
	v_fma_f16 v27, v7, s16, v26
	v_fma_f16 v24, v8, s1, v24
	v_fma_f16 v26, v7, s16, -v26
	v_mul_f16_e32 v30, 0xbb7b, v6
	v_mul_f16_e32 v6, 0x3bf1, v6
	v_add_f16_e32 v40, v40, v45
	v_add_f16_e32 v23, v23, v28
	v_fma_f16 v20, v7, s18, -v20
	v_add_f16_e32 v24, v24, v31
	v_add_f16_e32 v26, v26, v33
	v_mul_f16_e32 v28, 0xb5ac, v11
	v_fma_f16 v31, v7, s15, v30
	v_fma_f16 v30, v7, s15, -v30
	v_mul_f16_e32 v11, 0x2fb7, v11
	v_fma_f16 v33, v7, s12, v6
	v_fma_f16 v6, v7, s12, -v6
	v_mad_u32_u24 v7, v4, 52, 0
	v_add_f16_e32 v36, v36, v40
	v_add_f16_e32 v20, v20, v29
	;; [unrolled: 1-line block ×3, first 2 shown]
	v_fma_f16 v29, v8, s11, v28
	v_fma_f16 v32, v8, s4, v11
	v_add_f16_e32 v6, v6, v10
	ds_write_b32 v7, v5
	v_pack_b32_f16 v5, v13, v17
	v_pack_b32_f16 v10, v14, v16
	v_add_f16_e32 v29, v29, v34
	v_add_f16_e32 v31, v31, v36
	v_fma_f16 v28, v8, s10, v28
	v_add_f16_e32 v32, v32, v38
	v_add_f16_e32 v33, v33, v39
	v_fma_f16 v8, v8, s0, v11
	ds_write2_b32 v7, v10, v5 offset0:1 offset1:2
	v_pack_b32_f16 v5, v25, v27
	v_pack_b32_f16 v10, v19, v23
	v_add_f16_e32 v28, v28, v35
	v_add_f16_e32 v30, v30, v37
	;; [unrolled: 1-line block ×3, first 2 shown]
	ds_write2_b32 v7, v10, v5 offset0:3 offset1:4
	v_pack_b32_f16 v5, v32, v33
	v_pack_b32_f16 v10, v29, v31
	ds_write2_b32 v7, v10, v5 offset0:5 offset1:6
	v_pack_b32_f16 v5, v28, v30
	v_pack_b32_f16 v6, v8, v6
	s_movk_i32 s0, 0xffd0
	ds_write2_b32 v7, v6, v5 offset0:7 offset1:8
	v_pack_b32_f16 v5, v18, v20
	v_pack_b32_f16 v6, v24, v26
	v_mad_i32_i24 v17, v4, s0, v7
	ds_write2_b32 v7, v6, v5 offset0:9 offset1:10
	v_pack_b32_f16 v5, v21, v22
	v_pack_b32_f16 v6, v9, v15
	v_add_u32_e32 v9, 0xf00, v17
	ds_write2_b32 v7, v6, v5 offset0:11 offset1:12
	s_waitcnt lgkmcnt(0)
	s_barrier
	v_add_u32_e32 v5, 0x400, v17
	ds_read2_b32 v[11:12], v9 offset0:54 offset1:210
	v_add_u32_e32 v9, 0x1400, v17
	v_add_u32_e32 v13, 0xa00, v17
	;; [unrolled: 1-line block ×3, first 2 shown]
	ds_read2_b32 v[7:8], v17 offset1:156
	ds_read2_b32 v[5:6], v5 offset0:56 offset1:251
	ds_read2_b32 v[9:10], v9 offset0:46 offset1:241
	ds_read2_b32 v[13:14], v13 offset0:23 offset1:179
	ds_read2_b32 v[15:16], v15 offset0:13 offset1:169
	v_cmp_gt_u32_e64 s[0:1], 39, v4
                                        ; implicit-def: $vgpr28
                                        ; implicit-def: $vgpr23
                                        ; implicit-def: $vgpr25
                                        ; implicit-def: $vgpr27
                                        ; implicit-def: $vgpr26
                                        ; implicit-def: $vgpr24
	s_and_saveexec_b64 s[4:5], s[0:1]
	s_cbranch_execz .LBB0_13
; %bb.12:
	ds_read_b32 v21, v17 offset:1872
	ds_read_b32 v23, v17 offset:3900
	ds_read_b32 v27, v17 offset:5928
	ds_read_b32 v24, v17 offset:7956
	s_waitcnt lgkmcnt(3)
	v_lshrrev_b32_e32 v22, 16, v21
	s_waitcnt lgkmcnt(2)
	v_lshrrev_b32_e32 v28, 16, v23
	;; [unrolled: 2-line block ×4, first 2 shown]
.LBB0_13:
	s_or_b64 exec, exec, s[4:5]
	s_movk_i32 s4, 0x4f
	v_mul_lo_u16_sdwa v29, v4, s4 dst_sel:DWORD dst_unused:UNUSED_PAD src0_sel:BYTE_0 src1_sel:DWORD
	v_add_u32_e32 v20, 0x9c, v4
	v_lshrrev_b16_e32 v43, 10, v29
	s_movk_i32 s4, 0x4ec5
	v_mul_lo_u16_e32 v29, 13, v43
	v_mul_u32_u24_sdwa v30, v20, s4 dst_sel:DWORD dst_unused:UNUSED_PAD src0_sel:WORD_0 src1_sel:DWORD
	v_sub_u16_e32 v44, v4, v29
	v_mov_b32_e32 v29, 3
	v_lshrrev_b32_e32 v45, 18, v30
	v_mul_u32_u24_sdwa v29, v44, v29 dst_sel:DWORD dst_unused:UNUSED_PAD src0_sel:BYTE_0 src1_sel:DWORD
	v_mul_lo_u16_e32 v30, 13, v45
	v_lshlrev_b32_e32 v29, 2, v29
	v_sub_u16_e32 v46, v20, v30
	global_load_dwordx3 v[31:33], v29, s[8:9]
	v_mul_u32_u24_e32 v29, 3, v46
	v_add_u32_e32 v19, 0x138, v4
	v_lshlrev_b32_e32 v29, 2, v29
	global_load_dwordx3 v[34:36], v29, s[8:9]
	v_mul_u32_u24_sdwa v29, v19, s4 dst_sel:DWORD dst_unused:UNUSED_PAD src0_sel:WORD_0 src1_sel:DWORD
	v_lshrrev_b32_e32 v47, 18, v29
	v_mul_lo_u16_e32 v29, 13, v47
	v_sub_u16_e32 v48, v19, v29
	v_add_u32_e32 v18, 0x1d4, v4
	v_mul_u32_u24_e32 v29, 3, v48
	v_lshlrev_b32_e32 v29, 2, v29
	v_mul_u32_u24_sdwa v30, v18, s4 dst_sel:DWORD dst_unused:UNUSED_PAD src0_sel:WORD_0 src1_sel:DWORD
	global_load_dwordx3 v[37:39], v29, s[8:9]
	v_lshrrev_b32_e32 v29, 18, v30
	v_mul_lo_u16_e32 v30, 13, v29
	v_sub_u16_e32 v30, v18, v30
	v_mul_u32_u24_e32 v40, 3, v30
	v_lshlrev_b32_e32 v40, 2, v40
	global_load_dwordx3 v[40:42], v40, s[8:9]
	s_waitcnt lgkmcnt(3)
	v_lshrrev_b32_e32 v53, 16, v6
	v_lshrrev_b32_e32 v54, 16, v11
	s_waitcnt lgkmcnt(2)
	v_lshrrev_b32_e32 v55, 16, v10
	s_waitcnt lgkmcnt(1)
	v_lshrrev_b32_e32 v56, 16, v13
	v_lshrrev_b32_e32 v57, 16, v12
	s_waitcnt lgkmcnt(0)
	v_lshrrev_b32_e32 v58, 16, v15
	v_lshrrev_b32_e32 v49, 16, v7
	;; [unrolled: 1-line block ×7, first 2 shown]
	s_waitcnt vmcnt(0)
	s_barrier
	v_mul_f16_sdwa v61, v31, v53 dst_sel:DWORD dst_unused:UNUSED_PAD src0_sel:WORD_1 src1_sel:DWORD
	v_mul_f16_sdwa v63, v32, v54 dst_sel:DWORD dst_unused:UNUSED_PAD src0_sel:WORD_1 src1_sel:DWORD
	;; [unrolled: 1-line block ×6, first 2 shown]
	v_fma_f16 v6, v31, v6, -v61
	v_fma_f16 v11, v32, v11, -v63
	;; [unrolled: 1-line block ×3, first 2 shown]
	v_mul_f16_sdwa v67, v34, v56 dst_sel:DWORD dst_unused:UNUSED_PAD src0_sel:WORD_1 src1_sel:DWORD
	v_mul_f16_sdwa v68, v34, v13 dst_sel:DWORD dst_unused:UNUSED_PAD src0_sel:WORD_1 src1_sel:DWORD
	;; [unrolled: 1-line block ×5, first 2 shown]
	v_sub_f16_e32 v11, v7, v11
	v_sub_f16_e32 v10, v6, v10
	v_mul_f16_sdwa v70, v35, v12 dst_sel:DWORD dst_unused:UNUSED_PAD src0_sel:WORD_1 src1_sel:DWORD
	v_fma_f16 v13, v34, v13, -v67
	v_fma_f16 v34, v34, v56, v68
	v_mul_f16_sdwa v79, v28, v40 dst_sel:DWORD dst_unused:UNUSED_PAD src0_sel:DWORD src1_sel:WORD_1
	v_mul_f16_sdwa v80, v23, v40 dst_sel:DWORD dst_unused:UNUSED_PAD src0_sel:DWORD src1_sel:WORD_1
	;; [unrolled: 1-line block ×4, first 2 shown]
	v_fma_f16 v12, v35, v12, -v69
	v_fma_f16 v15, v36, v15, -v71
	v_fma_f16 v36, v36, v58, v72
	v_fma_f16 v7, v7, 2.0, -v11
	v_fma_f16 v6, v6, 2.0, -v10
	v_mul_f16_sdwa v73, v37, v59 dst_sel:DWORD dst_unused:UNUSED_PAD src0_sel:WORD_1 src1_sel:DWORD
	v_mul_f16_sdwa v75, v38, v60 dst_sel:DWORD dst_unused:UNUSED_PAD src0_sel:WORD_1 src1_sel:DWORD
	v_mul_f16_sdwa v77, v52, v39 dst_sel:DWORD dst_unused:UNUSED_PAD src0_sel:DWORD src1_sel:WORD_1
	v_fma_f16 v23, v23, v40, -v79
	v_fma_f16 v28, v28, v40, v80
	v_fma_f16 v27, v27, v41, -v81
	v_fma_f16 v25, v25, v41, v82
	v_mul_f16_sdwa v40, v26, v42 dst_sel:DWORD dst_unused:UNUSED_PAD src0_sel:DWORD src1_sel:WORD_1
	v_sub_f16_e32 v41, v7, v6
	v_sub_f16_e32 v6, v8, v12
	;; [unrolled: 1-line block ×3, first 2 shown]
	v_mul_f16_sdwa v74, v37, v14 dst_sel:DWORD dst_unused:UNUSED_PAD src0_sel:WORD_1 src1_sel:DWORD
	v_mul_f16_sdwa v76, v38, v9 dst_sel:DWORD dst_unused:UNUSED_PAD src0_sel:WORD_1 src1_sel:DWORD
	v_mul_f16_sdwa v78, v16, v39 dst_sel:DWORD dst_unused:UNUSED_PAD src0_sel:DWORD src1_sel:WORD_1
	v_fma_f16 v14, v37, v14, -v73
	v_fma_f16 v9, v38, v9, -v75
	;; [unrolled: 1-line block ×4, first 2 shown]
	v_mul_f16_sdwa v24, v24, v42 dst_sel:DWORD dst_unused:UNUSED_PAD src0_sel:DWORD src1_sel:WORD_1
	v_fma_f16 v34, v34, 2.0, -v36
	v_sub_f16_e32 v36, v6, v36
	v_fma_f16 v24, v26, v42, v24
	v_fma_f16 v8, v8, 2.0, -v6
	v_fma_f16 v42, v6, 2.0, -v36
	v_sub_f16_e32 v6, v5, v9
	v_sub_f16_e32 v16, v14, v16
	v_fma_f16 v32, v32, v54, v64
	v_fma_f16 v35, v35, v57, v70
	;; [unrolled: 1-line block ×5, first 2 shown]
	v_fma_f16 v5, v5, 2.0, -v6
	v_fma_f16 v14, v14, 2.0, -v16
	v_fma_f16 v31, v31, v53, v62
	v_fma_f16 v33, v33, v55, v66
	v_sub_f16_e32 v26, v49, v32
	v_sub_f16_e32 v12, v50, v35
	;; [unrolled: 1-line block ×7, first 2 shown]
	v_fma_f16 v32, v49, 2.0, -v26
	v_sub_f16_e32 v33, v31, v33
	v_fma_f16 v35, v50, 2.0, -v12
	v_fma_f16 v37, v37, 2.0, -v39
	;; [unrolled: 1-line block ×3, first 2 shown]
	v_sub_f16_e32 v39, v6, v39
	v_add_f16_e32 v50, v9, v16
	v_sub_f16_e32 v25, v22, v25
	v_fma_f16 v5, v21, 2.0, -v27
	v_fma_f16 v16, v23, 2.0, -v40
	;; [unrolled: 1-line block ×6, first 2 shown]
	v_sub_f16_e32 v52, v28, v24
	v_sub_f16_e32 v22, v5, v16
	;; [unrolled: 1-line block ×4, first 2 shown]
	v_add_f16_e32 v10, v26, v10
	v_fma_f16 v21, v28, 2.0, -v52
	v_fma_f16 v16, v5, 2.0, -v22
	v_sub_f16_e32 v5, v27, v52
	v_mov_b32_e32 v28, 2
	v_fma_f16 v7, v7, 2.0, -v41
	v_fma_f16 v32, v32, 2.0, -v31
	;; [unrolled: 1-line block ×4, first 2 shown]
	v_sub_f16_e32 v15, v13, v15
	v_fma_f16 v23, v27, 2.0, -v5
	v_mul_u32_u24_e32 v27, 0xd0, v43
	v_lshlrev_b32_sdwa v28, v28, v44 dst_sel:DWORD dst_unused:UNUSED_PAD src0_sel:DWORD src1_sel:BYTE_0
	v_fma_f16 v13, v13, 2.0, -v15
	v_add3_u32 v27, 0, v27, v28
	v_pack_b32_f16 v7, v7, v32
	v_pack_b32_f16 v11, v11, v26
	v_sub_f16_e32 v13, v8, v13
	v_sub_f16_e32 v34, v35, v34
	v_add_f16_e32 v15, v12, v15
	ds_write2_b32 v27, v7, v11 offset1:13
	v_pack_b32_f16 v7, v41, v31
	v_pack_b32_f16 v10, v33, v10
	v_fma_f16 v8, v8, 2.0, -v13
	v_fma_f16 v35, v35, 2.0, -v34
	;; [unrolled: 1-line block ×3, first 2 shown]
	ds_write2_b32 v27, v7, v10 offset0:26 offset1:39
	v_mul_u32_u24_e32 v7, 0xd0, v45
	v_lshlrev_b32_e32 v10, 2, v46
	v_add3_u32 v7, 0, v7, v10
	v_pack_b32_f16 v8, v8, v35
	v_pack_b32_f16 v10, v42, v12
	v_sub_f16_e32 v37, v38, v37
	ds_write2_b32 v7, v8, v10 offset1:13
	v_pack_b32_f16 v8, v13, v34
	v_pack_b32_f16 v10, v36, v15
	v_fma_f16 v38, v38, 2.0, -v37
	v_fma_f16 v9, v9, 2.0, -v50
	v_sub_f16_e32 v24, v6, v21
	ds_write2_b32 v7, v8, v10 offset0:26 offset1:39
	v_mul_u32_u24_e32 v7, 0xd0, v47
	v_lshlrev_b32_e32 v8, 2, v48
	v_fma_f16 v21, v6, 2.0, -v24
	v_add_f16_e32 v6, v25, v40
	v_add3_u32 v7, 0, v7, v8
	v_pack_b32_f16 v8, v49, v38
	v_pack_b32_f16 v9, v51, v9
	v_fma_f16 v25, v25, 2.0, -v6
	ds_write2_b32 v7, v8, v9 offset1:13
	v_pack_b32_f16 v8, v14, v37
	v_pack_b32_f16 v9, v39, v50
	ds_write2_b32 v7, v8, v9 offset0:26 offset1:39
	s_and_saveexec_b64 s[4:5], s[0:1]
	s_cbranch_execz .LBB0_15
; %bb.14:
	v_mul_lo_u16_e32 v7, 52, v29
	v_lshlrev_b32_e32 v8, 2, v30
	v_lshlrev_b32_e32 v7, 2, v7
	s_mov_b32 s0, 0x5040100
	v_add3_u32 v7, 0, v8, v7
	v_perm_b32 v8, v21, v16, s0
	v_perm_b32 v9, v25, v23, s0
	ds_write2_b32 v7, v8, v9 offset1:13
	v_perm_b32 v8, v24, v22, s0
	v_perm_b32 v5, v6, v5, s0
	ds_write2_b32 v7, v8, v5 offset0:26 offset1:39
.LBB0_15:
	s_or_b64 exec, exec, s[4:5]
	v_add_u32_e32 v7, 0xa00, v17
	s_waitcnt lgkmcnt(0)
	s_barrier
	ds_read2_b32 v[11:12], v7 offset0:36 offset1:192
	v_add_u32_e32 v7, 0x1400, v17
	ds_read2_b32 v[13:14], v7 offset0:72 offset1:228
	v_add_u32_e32 v7, 0xe00, v17
	v_add_u32_e32 v9, 0x1a00, v17
	ds_read2_b32 v[5:6], v17 offset1:156
	ds_read2_b32 v[7:8], v7 offset0:92 offset1:248
	ds_read2_b32 v[9:10], v9 offset1:156
	v_lshl_add_u32 v15, v4, 2, 0
	ds_read_b32 v27, v17 offset:1248
	ds_read_b32 v26, v15 offset:1872
	v_cmp_gt_u32_e64 s[0:1], 52, v4
	s_and_saveexec_b64 s[4:5], s[0:1]
	s_cbranch_execz .LBB0_17
; %bb.16:
	ds_read_b32 v16, v15 offset:2496
	ds_read_b32 v23, v17 offset:5200
	;; [unrolled: 1-line block ×3, first 2 shown]
	s_waitcnt lgkmcnt(2)
	v_lshrrev_b32_e32 v21, 16, v16
	s_waitcnt lgkmcnt(1)
	v_lshrrev_b32_e32 v25, 16, v23
	;; [unrolled: 2-line block ×3, first 2 shown]
.LBB0_17:
	s_or_b64 exec, exec, s[4:5]
	s_movk_i32 s4, 0x4f
	v_mul_lo_u16_sdwa v28, v4, s4 dst_sel:DWORD dst_unused:UNUSED_PAD src0_sel:BYTE_0 src1_sel:DWORD
	v_lshrrev_b16_e32 v42, 12, v28
	v_mul_lo_u16_e32 v28, 52, v42
	v_sub_u16_e32 v43, v4, v28
	v_mov_b32_e32 v28, 3
	v_lshlrev_b32_sdwa v28, v28, v43 dst_sel:DWORD dst_unused:UNUSED_PAD src0_sel:DWORD src1_sel:BYTE_0
	global_load_dwordx2 v[28:29], v28, s[8:9] offset:156
	s_waitcnt lgkmcnt(6)
	v_lshrrev_b32_e32 v35, 16, v11
	s_waitcnt lgkmcnt(5)
	v_lshrrev_b32_e32 v36, 16, v13
	s_movk_i32 s6, 0x4ec5
	v_lshrrev_b32_e32 v37, 16, v12
	v_lshrrev_b32_e32 v38, 16, v14
	s_waitcnt lgkmcnt(3)
	v_lshrrev_b32_e32 v39, 16, v7
	s_waitcnt lgkmcnt(2)
	v_lshrrev_b32_e32 v40, 16, v9
	v_lshrrev_b32_e32 v41, 16, v8
	;; [unrolled: 1-line block ×4, first 2 shown]
	s_movk_i32 s7, 0x3aee
	s_mov_b32 s10, 0xbaee
	v_lshrrev_b32_e32 v31, 16, v6
	s_waitcnt lgkmcnt(1)
	v_lshrrev_b32_e32 v32, 16, v27
	s_waitcnt lgkmcnt(0)
	v_lshrrev_b32_e32 v33, 16, v26
	s_waitcnt vmcnt(0)
	v_mul_f16_sdwa v44, v28, v35 dst_sel:DWORD dst_unused:UNUSED_PAD src0_sel:WORD_1 src1_sel:DWORD
	v_fma_f16 v44, v28, v11, -v44
	v_mul_f16_sdwa v11, v28, v11 dst_sel:DWORD dst_unused:UNUSED_PAD src0_sel:WORD_1 src1_sel:DWORD
	v_fma_f16 v35, v28, v35, v11
	v_mul_f16_sdwa v11, v29, v36 dst_sel:DWORD dst_unused:UNUSED_PAD src0_sel:WORD_1 src1_sel:DWORD
	v_fma_f16 v45, v29, v13, -v11
	v_mul_f16_sdwa v11, v29, v13 dst_sel:DWORD dst_unused:UNUSED_PAD src0_sel:WORD_1 src1_sel:DWORD
	v_fma_f16 v13, v29, v36, v11
	v_mul_u32_u24_sdwa v11, v20, s6 dst_sel:DWORD dst_unused:UNUSED_PAD src0_sel:WORD_0 src1_sel:DWORD
	v_lshrrev_b32_e32 v36, 20, v11
	v_mul_lo_u16_e32 v11, 52, v36
	v_sub_u16_e32 v20, v20, v11
	v_lshlrev_b32_e32 v11, 3, v20
	global_load_dwordx2 v[28:29], v11, s[8:9] offset:156
	s_waitcnt vmcnt(0)
	v_mul_f16_sdwa v11, v28, v37 dst_sel:DWORD dst_unused:UNUSED_PAD src0_sel:WORD_1 src1_sel:DWORD
	v_fma_f16 v46, v28, v12, -v11
	v_mul_f16_sdwa v11, v28, v12 dst_sel:DWORD dst_unused:UNUSED_PAD src0_sel:WORD_1 src1_sel:DWORD
	v_fma_f16 v28, v28, v37, v11
	v_mul_f16_sdwa v11, v29, v38 dst_sel:DWORD dst_unused:UNUSED_PAD src0_sel:WORD_1 src1_sel:DWORD
	v_fma_f16 v37, v29, v14, -v11
	v_mul_f16_sdwa v11, v29, v14 dst_sel:DWORD dst_unused:UNUSED_PAD src0_sel:WORD_1 src1_sel:DWORD
	v_fma_f16 v14, v29, v38, v11
	v_mul_u32_u24_sdwa v11, v19, s6 dst_sel:DWORD dst_unused:UNUSED_PAD src0_sel:WORD_0 src1_sel:DWORD
	v_lshrrev_b32_e32 v29, 20, v11
	v_mul_lo_u16_e32 v11, 52, v29
	v_sub_u16_e32 v19, v19, v11
	v_lshlrev_b32_e32 v11, 3, v19
	global_load_dwordx2 v[11:12], v11, s[8:9] offset:156
	s_waitcnt vmcnt(0)
	v_mul_f16_sdwa v38, v11, v39 dst_sel:DWORD dst_unused:UNUSED_PAD src0_sel:WORD_1 src1_sel:DWORD
	v_fma_f16 v38, v11, v7, -v38
	v_mul_f16_sdwa v7, v11, v7 dst_sel:DWORD dst_unused:UNUSED_PAD src0_sel:WORD_1 src1_sel:DWORD
	v_fma_f16 v7, v11, v39, v7
	v_mul_f16_sdwa v11, v12, v40 dst_sel:DWORD dst_unused:UNUSED_PAD src0_sel:WORD_1 src1_sel:DWORD
	v_fma_f16 v39, v12, v9, -v11
	v_mul_f16_sdwa v9, v12, v9 dst_sel:DWORD dst_unused:UNUSED_PAD src0_sel:WORD_1 src1_sel:DWORD
	v_mul_u32_u24_sdwa v11, v18, s6 dst_sel:DWORD dst_unused:UNUSED_PAD src0_sel:WORD_0 src1_sel:DWORD
	v_fma_f16 v9, v12, v40, v9
	v_lshrrev_b32_e32 v40, 20, v11
	v_mul_lo_u16_e32 v11, 52, v40
	v_sub_u16_e32 v18, v18, v11
	v_lshlrev_b32_e32 v11, 3, v18
	global_load_dwordx2 v[11:12], v11, s[8:9] offset:156
	s_waitcnt vmcnt(0)
	s_barrier
	v_mul_f16_sdwa v47, v11, v41 dst_sel:DWORD dst_unused:UNUSED_PAD src0_sel:WORD_1 src1_sel:DWORD
	v_fma_f16 v47, v11, v8, -v47
	v_mul_f16_sdwa v8, v11, v8 dst_sel:DWORD dst_unused:UNUSED_PAD src0_sel:WORD_1 src1_sel:DWORD
	v_fma_f16 v8, v11, v41, v8
	v_mul_f16_sdwa v11, v34, v12 dst_sel:DWORD dst_unused:UNUSED_PAD src0_sel:DWORD src1_sel:WORD_1
	v_fma_f16 v11, v10, v12, -v11
	v_mul_f16_sdwa v10, v10, v12 dst_sel:DWORD dst_unused:UNUSED_PAD src0_sel:DWORD src1_sel:WORD_1
	v_fma_f16 v10, v34, v12, v10
	v_add_f16_e32 v34, v44, v45
	v_add_f16_e32 v12, v5, v44
	v_fma_f16 v5, v34, -0.5, v5
	v_sub_f16_e32 v34, v35, v13
	v_fma_f16 v41, v34, s7, v5
	v_fma_f16 v5, v34, s10, v5
	v_add_f16_e32 v34, v30, v35
	v_add_f16_e32 v34, v34, v13
	;; [unrolled: 1-line block ×3, first 2 shown]
	v_fma_f16 v13, v13, -0.5, v30
	v_sub_f16_e32 v30, v44, v45
	v_add_f16_e32 v44, v46, v37
	v_fma_f16 v35, v30, s10, v13
	v_fma_f16 v13, v30, s7, v13
	v_add_f16_e32 v30, v6, v46
	v_fma_f16 v6, v44, -0.5, v6
	v_sub_f16_e32 v44, v28, v14
	v_add_f16_e32 v12, v12, v45
	v_fma_f16 v45, v44, s7, v6
	v_fma_f16 v6, v44, s10, v6
	v_add_f16_e32 v44, v31, v28
	v_add_f16_e32 v44, v44, v14
	;; [unrolled: 1-line block ×4, first 2 shown]
	v_fma_f16 v14, v14, -0.5, v31
	v_sub_f16_e32 v28, v46, v37
	v_add_f16_e32 v37, v38, v39
	v_fma_f16 v31, v28, s10, v14
	v_fma_f16 v14, v28, s7, v14
	v_add_f16_e32 v28, v27, v38
	v_fma_f16 v27, v37, -0.5, v27
	v_sub_f16_e32 v37, v7, v9
	v_fma_f16 v46, v37, s7, v27
	v_fma_f16 v27, v37, s10, v27
	v_add_f16_e32 v37, v32, v7
	v_add_f16_e32 v7, v7, v9
	v_add_f16_e32 v37, v37, v9
	v_fma_f16 v7, v7, -0.5, v32
	v_sub_f16_e32 v9, v38, v39
	v_add_f16_e32 v38, v47, v11
	v_fma_f16 v32, v9, s10, v7
	v_fma_f16 v7, v9, s7, v7
	v_add_f16_e32 v9, v26, v47
	v_fma_f16 v26, v38, -0.5, v26
	v_sub_f16_e32 v38, v8, v10
	v_add_f16_e32 v28, v28, v39
	v_fma_f16 v39, v38, s7, v26
	v_fma_f16 v26, v38, s10, v26
	v_add_f16_e32 v38, v33, v8
	v_add_f16_e32 v8, v8, v10
	;; [unrolled: 1-line block ×3, first 2 shown]
	v_fma_f16 v8, v8, -0.5, v33
	v_sub_f16_e32 v10, v47, v11
	v_mov_b32_e32 v33, 2
	v_add_f16_e32 v9, v9, v11
	v_fma_f16 v11, v10, s10, v8
	v_fma_f16 v8, v10, s7, v8
	v_mul_u32_u24_e32 v10, 0x270, v42
	v_lshlrev_b32_sdwa v33, v33, v43 dst_sel:DWORD dst_unused:UNUSED_PAD src0_sel:DWORD src1_sel:BYTE_0
	v_add3_u32 v10, 0, v10, v33
	v_pack_b32_f16 v12, v12, v34
	v_pack_b32_f16 v33, v41, v35
	;; [unrolled: 1-line block ×3, first 2 shown]
	ds_write2_b32 v10, v12, v33 offset1:52
	ds_write_b32 v10, v5 offset:416
	v_mul_u32_u24_e32 v5, 0x270, v36
	v_lshlrev_b32_e32 v10, 2, v20
	v_add3_u32 v5, 0, v5, v10
	v_pack_b32_f16 v10, v30, v44
	v_pack_b32_f16 v12, v45, v31
	;; [unrolled: 1-line block ×3, first 2 shown]
	ds_write2_b32 v5, v10, v12 offset1:52
	ds_write_b32 v5, v6 offset:416
	v_mul_u32_u24_e32 v5, 0x270, v29
	v_lshlrev_b32_e32 v6, 2, v19
	v_add3_u32 v5, 0, v5, v6
	v_pack_b32_f16 v6, v28, v37
	v_pack_b32_f16 v10, v46, v32
	ds_write2_b32 v5, v6, v10 offset1:52
	v_pack_b32_f16 v6, v27, v7
	ds_write_b32 v5, v6 offset:416
	v_mul_u32_u24_e32 v5, 0x270, v40
	v_lshlrev_b32_e32 v6, 2, v18
	v_add3_u32 v5, 0, v5, v6
	v_pack_b32_f16 v6, v9, v38
	v_pack_b32_f16 v7, v39, v11
	ds_write2_b32 v5, v6, v7 offset1:52
	v_pack_b32_f16 v6, v26, v8
	ds_write_b32 v5, v6 offset:416
	s_and_saveexec_b64 s[4:5], s[0:1]
	s_cbranch_execz .LBB0_19
; %bb.18:
	v_add_u32_e32 v5, 0x270, v4
	v_mul_u32_u24_sdwa v6, v5, s6 dst_sel:DWORD dst_unused:UNUSED_PAD src0_sel:WORD_0 src1_sel:DWORD
	v_lshrrev_b32_e32 v6, 20, v6
	v_mul_lo_u16_e32 v6, 52, v6
	v_sub_u16_e32 v7, v5, v6
	v_lshlrev_b32_e32 v5, 3, v7
	global_load_dwordx2 v[5:6], v5, s[8:9] offset:156
	v_lshl_add_u32 v7, v7, 2, 0
	v_add_u32_e32 v8, 0x1c00, v7
	s_waitcnt vmcnt(0)
	v_mul_f16_sdwa v9, v25, v5 dst_sel:DWORD dst_unused:UNUSED_PAD src0_sel:DWORD src1_sel:WORD_1
	v_mul_f16_sdwa v10, v24, v6 dst_sel:DWORD dst_unused:UNUSED_PAD src0_sel:DWORD src1_sel:WORD_1
	;; [unrolled: 1-line block ×4, first 2 shown]
	v_fma_f16 v9, v23, v5, -v9
	v_fma_f16 v10, v22, v6, -v10
	v_fma_f16 v5, v25, v5, v11
	v_fma_f16 v6, v24, v6, v12
	v_add_f16_e32 v12, v5, v6
	v_add_f16_e32 v13, v9, v10
	v_sub_f16_e32 v11, v9, v10
	v_sub_f16_e32 v14, v5, v6
	v_add_f16_e32 v5, v21, v5
	v_add_f16_e32 v9, v16, v9
	v_fma_f16 v12, v12, -0.5, v21
	v_fma_f16 v13, v13, -0.5, v16
	v_add_f16_e32 v5, v5, v6
	v_add_f16_e32 v6, v9, v10
	v_fma_f16 v9, v11, s7, v12
	v_fma_f16 v11, v11, s10, v12
	;; [unrolled: 1-line block ×4, first 2 shown]
	v_pack_b32_f16 v5, v6, v5
	v_pack_b32_f16 v6, v12, v11
	;; [unrolled: 1-line block ×3, first 2 shown]
	ds_write2_b32 v8, v5, v6 offset0:80 offset1:132
	ds_write_b32 v7, v9 offset:7904
.LBB0_19:
	s_or_b64 exec, exec, s[4:5]
	s_waitcnt lgkmcnt(0)
	s_barrier
	s_and_saveexec_b64 s[0:1], vcc
	s_cbranch_execz .LBB0_21
; %bb.20:
	v_mul_u32_u24_e32 v4, 12, v4
	v_lshlrev_b32_e32 v12, 2, v4
	global_load_dwordx4 v[4:7], v12, s[8:9] offset:604
	global_load_dwordx4 v[8:11], v12, s[8:9] offset:572
	;; [unrolled: 1-line block ×3, first 2 shown]
	ds_read2_b32 v[12:13], v17 offset1:156
	ds_read_b32 v28, v17 offset:1248
	v_add_u32_e32 v14, 0x1a00, v17
	v_add_u32_e32 v16, 0x1500, v17
	;; [unrolled: 1-line block ×5, first 2 shown]
	ds_read2_b32 v[14:15], v14 offset0:52 offset1:208
	ds_read2_b32 v[16:17], v16 offset0:60 offset1:216
	;; [unrolled: 1-line block ×5, first 2 shown]
	s_movk_i32 s6, 0x3770
	s_movk_i32 s9, 0x3a95
	;; [unrolled: 1-line block ×9, first 2 shown]
	s_mov_b32 s5, 0xb5ac
	s_mov_b32 s11, 0xb9fd
	;; [unrolled: 1-line block ×8, first 2 shown]
	s_waitcnt vmcnt(2)
	v_lshrrev_b32_e32 v32, 16, v7
	s_waitcnt lgkmcnt(4)
	v_mul_f16_sdwa v33, v7, v15 dst_sel:DWORD dst_unused:UNUSED_PAD src0_sel:DWORD src1_sel:WORD_1
	s_waitcnt vmcnt(1)
	v_lshrrev_b32_e32 v34, 16, v8
	v_mul_f16_sdwa v38, v8, v13 dst_sel:DWORD dst_unused:UNUSED_PAD src0_sel:DWORD src1_sel:WORD_1
	v_lshrrev_b32_e32 v29, 16, v4
	v_lshrrev_b32_e32 v30, 16, v5
	;; [unrolled: 1-line block ×4, first 2 shown]
	v_mul_f16_sdwa v39, v6, v14 dst_sel:DWORD dst_unused:UNUSED_PAD src0_sel:DWORD src1_sel:WORD_1
	v_mul_f16_sdwa v40, v9, v28 dst_sel:DWORD dst_unused:UNUSED_PAD src0_sel:DWORD src1_sel:WORD_1
	s_waitcnt lgkmcnt(3)
	v_mul_f16_sdwa v41, v5, v17 dst_sel:DWORD dst_unused:UNUSED_PAD src0_sel:DWORD src1_sel:WORD_1
	v_mul_f16_sdwa v43, v4, v16 dst_sel:DWORD dst_unused:UNUSED_PAD src0_sel:DWORD src1_sel:WORD_1
	v_fma_f16 v33, v32, v15, v33
	v_fma_f16 v38, v34, v13, v38
	v_mul_f16_sdwa v34, v34, v13 dst_sel:DWORD dst_unused:UNUSED_PAD src0_sel:DWORD src1_sel:WORD_1
	v_mul_f16_sdwa v32, v32, v15 dst_sel:DWORD dst_unused:UNUSED_PAD src0_sel:DWORD src1_sel:WORD_1
	v_lshrrev_b32_e32 v36, 16, v10
	v_lshrrev_b32_e32 v37, 16, v11
	s_waitcnt lgkmcnt(2)
	v_mul_f16_sdwa v42, v10, v22 dst_sel:DWORD dst_unused:UNUSED_PAD src0_sel:DWORD src1_sel:WORD_1
	v_mul_f16_sdwa v44, v11, v23 dst_sel:DWORD dst_unused:UNUSED_PAD src0_sel:DWORD src1_sel:WORD_1
	v_fma_f16 v39, v31, v14, v39
	v_fma_f16 v40, v35, v28, v40
	v_mul_f16_sdwa v35, v35, v28 dst_sel:DWORD dst_unused:UNUSED_PAD src0_sel:DWORD src1_sel:WORD_1
	v_mul_f16_sdwa v31, v31, v14 dst_sel:DWORD dst_unused:UNUSED_PAD src0_sel:DWORD src1_sel:WORD_1
	v_fma_f16 v41, v30, v17, v41
	v_mul_f16_sdwa v30, v30, v17 dst_sel:DWORD dst_unused:UNUSED_PAD src0_sel:DWORD src1_sel:WORD_1
	v_fma_f16 v43, v29, v16, v43
	v_mul_f16_sdwa v29, v29, v16 dst_sel:DWORD dst_unused:UNUSED_PAD src0_sel:DWORD src1_sel:WORD_1
	v_add_f16_e32 v50, v33, v38
	v_fma_f16 v8, v8, v13, -v34
	v_fma_f16 v7, v15, v7, -v32
	v_fma_f16 v42, v36, v22, v42
	v_mul_f16_sdwa v36, v36, v22 dst_sel:DWORD dst_unused:UNUSED_PAD src0_sel:DWORD src1_sel:WORD_1
	v_fma_f16 v44, v37, v23, v44
	v_mul_f16_sdwa v37, v37, v23 dst_sel:DWORD dst_unused:UNUSED_PAD src0_sel:DWORD src1_sel:WORD_1
	v_add_f16_e32 v13, v39, v40
	v_fma_f16 v9, v9, v28, -v35
	v_fma_f16 v6, v14, v6, -v31
	;; [unrolled: 1-line block ×4, first 2 shown]
	v_mul_f16_e32 v16, 0x3b15, v50
	v_sub_f16_e32 v17, v8, v7
	v_fma_f16 v10, v10, v22, -v36
	v_fma_f16 v11, v11, v23, -v37
	v_mul_f16_e32 v22, 0x388b, v13
	v_sub_f16_e32 v23, v9, v6
	v_fma_f16 v32, v17, s6, v16
	s_waitcnt vmcnt(0)
	v_lshrrev_b32_e32 v45, 16, v18
	v_add_f16_e32 v14, v41, v42
	v_fma_f16 v34, v23, s9, v22
	v_add_f16_sdwa v32, v32, v12 dst_sel:DWORD dst_unused:UNUSED_PAD src0_sel:DWORD src1_sel:WORD_1
	v_lshrrev_b32_e32 v48, 16, v21
	s_waitcnt lgkmcnt(1)
	v_mul_f16_sdwa v49, v21, v25 dst_sel:DWORD dst_unused:UNUSED_PAD src0_sel:DWORD src1_sel:WORD_1
	v_add_f16_e32 v15, v43, v44
	v_mul_f16_e32 v28, 0x2fb7, v14
	v_sub_f16_e32 v29, v10, v5
	v_add_f16_e32 v32, v32, v34
	s_waitcnt lgkmcnt(0)
	v_mul_f16_sdwa v34, v18, v26 dst_sel:DWORD dst_unused:UNUSED_PAD src0_sel:DWORD src1_sel:WORD_1
	v_mul_f16_sdwa v37, v45, v26 dst_sel:DWORD dst_unused:UNUSED_PAD src0_sel:DWORD src1_sel:WORD_1
	v_fma_f16 v49, v48, v25, v49
	v_mul_f16_e32 v30, 0xb5ac, v15
	v_sub_f16_e32 v31, v11, v4
	v_fma_f16 v35, v29, s7, v28
	v_fma_f16 v34, v45, v26, v34
	v_fma_f16 v18, v18, v26, -v37
	v_mul_f16_sdwa v26, v48, v25 dst_sel:DWORD dst_unused:UNUSED_PAD src0_sel:DWORD src1_sel:WORD_1
	v_fma_f16 v36, v31, s8, v30
	v_add_f16_e32 v32, v32, v35
	v_add_f16_e32 v35, v49, v34
	v_fma_f16 v21, v25, v21, -v26
	v_add_f16_e32 v32, v32, v36
	v_mul_f16_e32 v36, 0xb9fd, v35
	v_sub_f16_e32 v25, v18, v21
	v_lshrrev_b32_e32 v46, 16, v19
	v_fma_f16 v26, v25, s10, v36
	v_mul_f16_sdwa v37, v19, v27 dst_sel:DWORD dst_unused:UNUSED_PAD src0_sel:DWORD src1_sel:WORD_1
	v_lshrrev_b32_e32 v47, 16, v20
	v_add_f16_e32 v26, v32, v26
	v_mul_f16_sdwa v32, v20, v24 dst_sel:DWORD dst_unused:UNUSED_PAD src0_sel:DWORD src1_sel:WORD_1
	v_fma_f16 v37, v46, v27, v37
	v_mul_f16_sdwa v46, v46, v27 dst_sel:DWORD dst_unused:UNUSED_PAD src0_sel:DWORD src1_sel:WORD_1
	v_fma_f16 v32, v47, v24, v32
	v_fma_f16 v19, v27, v19, -v46
	v_mul_f16_sdwa v27, v47, v24 dst_sel:DWORD dst_unused:UNUSED_PAD src0_sel:DWORD src1_sel:WORD_1
	v_add_f16_e32 v45, v32, v37
	v_fma_f16 v20, v24, v20, -v27
	v_mul_f16_e32 v48, 0xbbc4, v45
	v_sub_f16_e32 v24, v19, v20
	v_fma_f16 v27, v24, s16, v48
	v_sub_f16_e32 v46, v38, v33
	v_add_f16_e32 v26, v26, v27
	v_add_f16_e32 v27, v7, v8
	v_mul_f16_e32 v47, 0xb770, v46
	v_sub_f16_e32 v53, v40, v39
	v_fma_f16 v51, v27, s0, v47
	v_add_f16_e32 v52, v6, v9
	v_mul_f16_e32 v54, 0xba95, v53
	v_add_f16_e32 v51, v51, v12
	v_fma_f16 v55, v52, s1, v54
	v_sub_f16_e32 v56, v42, v41
	v_add_f16_e32 v51, v51, v55
	v_add_f16_e32 v55, v5, v10
	v_mul_f16_e32 v57, 0xbbf1, v56
	v_fma_f16 v58, v55, s4, v57
	v_sub_f16_e32 v59, v44, v43
	v_add_f16_e32 v51, v51, v58
	v_add_f16_e32 v58, v4, v11
	v_mul_f16_e32 v60, 0xbb7b, v59
	;; [unrolled: 5-line block ×4, first 2 shown]
	v_fma_f16 v67, v64, s12, v66
	v_add_f16_e32 v51, v51, v67
	v_mul_f16_e32 v67, 0x388b, v50
	v_fma_f16 v68, v17, s9, v67
	v_mul_f16_e32 v69, 0xb5ac, v13
	v_add_f16_sdwa v68, v68, v12 dst_sel:DWORD dst_unused:UNUSED_PAD src0_sel:DWORD src1_sel:WORD_1
	v_fma_f16 v70, v23, s8, v69
	v_add_f16_e32 v68, v68, v70
	v_mul_f16_e32 v70, 0xbbc4, v14
	v_fma_f16 v71, v29, s16, v70
	v_add_f16_e32 v68, v68, v71
	v_mul_f16_e32 v71, 0xb9fd, v15
	v_fma_f16 v72, v31, s13, v71
	v_add_f16_e32 v68, v68, v72
	v_mul_f16_e32 v72, 0x2fb7, v35
	v_fma_f16 v73, v25, s14, v72
	v_add_f16_e32 v68, v68, v73
	v_mul_f16_e32 v73, 0x3b15, v45
	v_fma_f16 v74, v24, s15, v73
	v_add_f16_e32 v68, v68, v74
	v_mul_f16_e32 v74, 0xba95, v46
	v_fma_f16 v75, v27, s1, v74
	v_mul_f16_e32 v76, 0xbb7b, v53
	v_add_f16_e32 v75, v75, v12
	v_fma_f16 v77, v52, s5, v76
	v_add_f16_e32 v75, v75, v77
	v_mul_f16_e32 v77, 0xb3a8, v56
	v_fma_f16 v78, v55, s12, v77
	v_add_f16_e32 v75, v75, v78
	v_mul_f16_e32 v78, 0x394e, v59
	v_fma_f16 v79, v58, s11, v78
	v_add_f16_e32 v75, v75, v79
	v_mul_f16_e32 v79, 0x3bf1, v62
	v_fma_f16 v80, v61, s4, v79
	v_add_f16_e32 v75, v75, v80
	v_mul_f16_e32 v80, 0x3770, v65
	v_fma_f16 v81, v64, s0, v80
	v_add_f16_e32 v75, v75, v81
	v_mul_f16_e32 v81, 0x2fb7, v50
	v_fma_f16 v82, v17, s7, v81
	v_mul_f16_e32 v83, 0xbbc4, v13
	v_add_f16_sdwa v82, v82, v12 dst_sel:DWORD dst_unused:UNUSED_PAD src0_sel:DWORD src1_sel:WORD_1
	v_fma_f16 v84, v23, s16, v83
	v_add_f16_e32 v82, v82, v84
	v_mul_f16_e32 v84, 0xb5ac, v14
	v_fma_f16 v85, v29, s17, v84
	v_add_f16_e32 v82, v82, v85
	v_mul_f16_e32 v85, 0x3b15, v15
	v_fma_f16 v86, v31, s15, v85
	v_add_f16_e32 v82, v82, v86
	v_mul_f16_e32 v86, 0x388b, v35
	v_fma_f16 v87, v25, s9, v86
	v_add_f16_e32 v82, v82, v87
	v_mul_f16_e32 v87, 0xb9fd, v45
	v_fma_f16 v88, v24, s10, v87
	v_add_f16_e32 v82, v82, v88
	v_mul_f16_e32 v88, 0xbbf1, v46
	v_fma_f16 v89, v27, s4, v88
	v_mul_f16_e32 v90, 0xb3a8, v53
	v_add_f16_e32 v89, v89, v12
	v_fma_f16 v91, v52, s12, v90
	v_add_f16_e32 v89, v89, v91
	v_mul_f16_e32 v91, 0x3b7b, v56
	v_fma_f16 v92, v55, s5, v91
	v_add_f16_e32 v89, v89, v92
	v_mul_f16_e32 v92, 0x3770, v59
	v_fma_f16 v93, v58, s0, v92
	v_add_f16_e32 v89, v89, v93
	v_mul_f16_e32 v93, 0xba95, v62
	v_fma_f16 v94, v61, s1, v93
	v_add_f16_e32 v89, v89, v94
	v_mul_f16_e32 v94, 0xb94e, v65
	v_fma_f16 v95, v64, s11, v94
	v_add_f16_e32 v89, v89, v95
	v_mul_f16_e32 v95, 0xb5ac, v50
	v_fma_f16 v96, v17, s8, v95
	v_mul_f16_e32 v97, 0xb9fd, v13
	v_add_f16_sdwa v96, v96, v12 dst_sel:DWORD dst_unused:UNUSED_PAD src0_sel:DWORD src1_sel:WORD_1
	v_fma_f16 v98, v23, s13, v97
	v_add_f16_e32 v96, v96, v98
	v_mul_f16_e32 v98, 0x3b15, v14
	v_fma_f16 v99, v29, s15, v98
	v_add_f16_e32 v96, v96, v99
	v_mul_f16_e32 v99, 0x2fb7, v15
	v_fma_f16 v100, v31, s7, v99
	v_add_f16_e32 v96, v96, v100
	v_mul_f16_e32 v100, 0xbbc4, v35
	v_fma_f16 v101, v25, s18, v100
	v_add_f16_e32 v96, v96, v101
	v_mul_f16_e32 v101, 0x388b, v45
	v_fma_f16 v102, v24, s19, v101
	v_add_f16_e32 v96, v96, v102
	v_mul_f16_e32 v102, 0xbb7b, v46
	v_fma_f16 v103, v27, s5, v102
	v_mul_f16_e32 v104, 0x394e, v53
	v_add_f16_e32 v103, v103, v12
	v_fma_f16 v105, v52, s11, v104
	v_add_f16_e32 v103, v103, v105
	v_mul_f16_e32 v105, 0x3770, v56
	v_fma_f16 v106, v55, s0, v105
	v_add_f16_e32 v103, v103, v106
	v_mul_f16_e32 v106, 0xbbf1, v59
	v_fma_f16 v107, v58, s4, v106
	v_add_f16_e32 v103, v103, v107
	v_mul_f16_e32 v107, 0x33a8, v62
	v_fma_f16 v108, v61, s12, v107
	v_add_f16_e32 v103, v103, v108
	v_mul_f16_e32 v108, 0x3a95, v65
	v_fma_f16 v109, v64, s1, v108
	v_add_f16_e32 v103, v103, v109
	v_mul_f16_e32 v109, 0xb9fd, v50
	v_fma_f16 v110, v17, s10, v109
	v_mul_f16_e32 v111, 0x2fb7, v13
	v_add_f16_sdwa v110, v110, v12 dst_sel:DWORD dst_unused:UNUSED_PAD src0_sel:DWORD src1_sel:WORD_1
	v_fma_f16 v112, v23, s14, v111
	v_add_f16_e32 v110, v110, v112
	v_mul_f16_e32 v112, 0x388b, v14
	v_fma_f16 v113, v29, s9, v112
	v_add_f16_e32 v110, v110, v113
	v_mul_f16_e32 v113, 0xbbc4, v15
	v_fma_f16 v114, v31, s18, v113
	v_add_f16_e32 v110, v110, v114
	v_mul_f16_e32 v114, 0x3b15, v35
	v_fma_f16 v115, v25, s15, v114
	v_add_f16_e32 v110, v110, v115
	v_mul_f16_e32 v115, 0xb5ac, v45
	v_fma_f16 v116, v24, s8, v115
	v_add_f16_e32 v110, v110, v116
	v_mul_f16_e32 v116, 0xb94e, v46
	v_fma_f16 v117, v27, s11, v116
	v_mul_f16_e32 v118, 0x3bf1, v53
	v_add_f16_e32 v117, v117, v12
	v_fma_f16 v119, v52, s4, v118
	v_add_f16_e32 v117, v117, v119
	v_mul_f16_e32 v119, 0xba95, v56
	v_fma_f16 v120, v55, s1, v119
	v_add_f16_e32 v117, v117, v120
	v_mul_f16_e32 v120, 0x33a8, v59
	v_fma_f16 v121, v58, s12, v120
	v_add_f16_e32 v117, v117, v121
	v_mul_f16_e32 v121, 0x3770, v62
	v_fma_f16 v122, v61, s0, v121
	v_add_f16_e32 v117, v117, v122
	v_mul_f16_e32 v122, 0xbb7b, v65
	v_fma_f16 v123, v64, s5, v122
	v_mul_f16_e32 v50, 0xbbc4, v50
	v_add_f16_e32 v117, v117, v123
	v_fma_f16 v123, v17, s16, v50
	v_mul_f16_e32 v13, 0x3b15, v13
	v_fma_f16 v50, v17, s18, v50
	v_add_f16_sdwa v123, v123, v12 dst_sel:DWORD dst_unused:UNUSED_PAD src0_sel:DWORD src1_sel:WORD_1
	v_fma_f16 v124, v23, s15, v13
	v_mul_f16_e32 v14, 0xb9fd, v14
	v_add_f16_sdwa v50, v50, v12 dst_sel:DWORD dst_unused:UNUSED_PAD src0_sel:DWORD src1_sel:WORD_1
	v_fma_f16 v13, v23, s6, v13
	v_add_f16_e32 v123, v123, v124
	v_fma_f16 v124, v29, s10, v14
	v_mul_f16_e32 v15, 0x388b, v15
	v_add_f16_e32 v13, v50, v13
	v_fma_f16 v14, v29, s13, v14
	v_mul_f16_e32 v35, 0xb5ac, v35
	;; [unrolled: 3-line block ×5, first 2 shown]
	v_add_f16_e32 v13, v13, v14
	v_fma_f16 v14, v27, s12, -v46
	v_add_f16_e32 v123, v123, v124
	v_fma_f16 v124, v31, s19, v15
	v_mul_f16_e32 v56, 0xb94e, v56
	v_add_f16_e32 v14, v14, v12
	v_fma_f16 v15, v52, s0, -v53
	v_mul_f16_e32 v59, 0x3a95, v59
	v_add_f16_e32 v14, v14, v15
	v_fma_f16 v15, v55, s11, -v56
	;; [unrolled: 3-line block ×4, first 2 shown]
	v_add_f16_e32 v14, v14, v15
	v_fma_f16 v15, v64, s4, -v65
	v_add_f16_e32 v14, v14, v15
	v_fma_f16 v15, v17, s13, v109
	v_add_f16_e32 v123, v123, v124
	v_fma_f16 v124, v25, s8, v35
	v_add_f16_sdwa v15, v15, v12 dst_sel:DWORD dst_unused:UNUSED_PAD src0_sel:DWORD src1_sel:WORD_1
	v_fma_f16 v35, v23, s7, v111
	v_add_f16_e32 v15, v15, v35
	v_fma_f16 v35, v29, s19, v112
	v_add_f16_e32 v15, v15, v35
	;; [unrolled: 2-line block ×5, first 2 shown]
	v_fma_f16 v35, v27, s11, -v116
	v_add_f16_e32 v123, v123, v124
	v_fma_f16 v124, v24, s14, v45
	v_add_f16_e32 v35, v35, v12
	v_fma_f16 v45, v52, s4, -v118
	v_add_f16_e32 v35, v35, v45
	v_fma_f16 v45, v55, s1, -v119
	;; [unrolled: 2-line block ×5, first 2 shown]
	v_add_f16_e32 v35, v35, v45
	v_fma_f16 v45, v17, s17, v95
	v_add_f16_e32 v123, v123, v124
	v_fma_f16 v124, v27, s12, v46
	v_add_f16_sdwa v45, v45, v12 dst_sel:DWORD dst_unused:UNUSED_PAD src0_sel:DWORD src1_sel:WORD_1
	v_fma_f16 v46, v23, s10, v97
	v_add_f16_e32 v45, v45, v46
	v_fma_f16 v46, v29, s6, v98
	v_add_f16_e32 v45, v45, v46
	v_fma_f16 v46, v31, s14, v99
	v_add_f16_e32 v45, v45, v46
	v_fma_f16 v46, v25, s16, v100
	v_add_f16_e32 v45, v45, v46
	v_fma_f16 v46, v24, s9, v101
	v_add_f16_e32 v45, v45, v46
	v_fma_f16 v46, v27, s5, -v102
	v_add_f16_e32 v46, v46, v12
	v_fma_f16 v50, v52, s11, -v104
	v_add_f16_e32 v46, v46, v50
	;; [unrolled: 2-line block ×6, first 2 shown]
	v_fma_f16 v50, v17, s14, v81
	v_fma_f16 v125, v52, s0, v53
	v_add_f16_sdwa v50, v50, v12 dst_sel:DWORD dst_unused:UNUSED_PAD src0_sel:DWORD src1_sel:WORD_1
	v_fma_f16 v53, v23, s18, v83
	v_add_f16_e32 v50, v50, v53
	v_fma_f16 v53, v29, s8, v84
	v_add_f16_e32 v8, v8, v12
	v_add_f16_e32 v50, v50, v53
	v_fma_f16 v53, v31, s6, v85
	v_add_f16_e32 v8, v8, v9
	;; [unrolled: 3-line block ×4, first 2 shown]
	v_add_f16_e32 v124, v124, v12
	v_add_f16_e32 v50, v50, v53
	v_fma_f16 v53, v27, s4, -v88
	v_add_f16_e32 v8, v8, v18
	v_add_f16_e32 v124, v124, v125
	v_fma_f16 v125, v55, s11, v56
	v_add_f16_e32 v53, v53, v12
	v_fma_f16 v56, v52, s12, -v90
	v_add_f16_e32 v8, v8, v19
	v_add_f16_e32 v53, v53, v56
	v_fma_f16 v56, v55, s5, -v91
	v_add_f16_e32 v8, v20, v8
	;; [unrolled: 3-line block ×4, first 2 shown]
	v_add_f16_e32 v53, v53, v56
	v_fma_f16 v56, v64, s11, -v94
	v_fma_f16 v16, v17, s15, v16
	v_add_f16_e32 v4, v5, v4
	v_add_f16_sdwa v5, v38, v12 dst_sel:DWORD dst_unused:UNUSED_PAD src0_sel:DWORD src1_sel:WORD_1
	v_add_f16_e32 v53, v53, v56
	v_fma_f16 v56, v17, s19, v67
	v_fma_f16 v17, v23, s19, v22
	v_add_f16_sdwa v16, v16, v12 dst_sel:DWORD dst_unused:UNUSED_PAD src0_sel:DWORD src1_sel:WORD_1
	v_add_f16_e32 v5, v5, v40
	v_add_f16_e32 v124, v124, v125
	v_fma_f16 v125, v58, s1, v59
	v_add_f16_sdwa v56, v56, v12 dst_sel:DWORD dst_unused:UNUSED_PAD src0_sel:DWORD src1_sel:WORD_1
	v_fma_f16 v59, v23, s17, v69
	v_add_f16_e32 v16, v16, v17
	v_fma_f16 v17, v29, s14, v28
	v_add_f16_e32 v5, v5, v42
	v_add_f16_e32 v56, v56, v59
	v_fma_f16 v59, v29, s18, v70
	v_add_f16_e32 v16, v16, v17
	v_fma_f16 v17, v31, s17, v30
	v_add_f16_e32 v5, v5, v44
	v_add_f16_e32 v56, v56, v59
	;; [unrolled: 5-line block ×4, first 2 shown]
	v_fma_f16 v59, v24, s6, v73
	v_add_f16_e32 v16, v16, v17
	v_fma_f16 v17, v27, s0, -v47
	v_add_f16_e32 v5, v32, v5
	v_add_f16_e32 v56, v56, v59
	v_fma_f16 v59, v27, s1, -v74
	v_fma_f16 v22, v52, s1, -v54
	v_add_f16_e32 v17, v17, v12
	v_add_f16_e32 v4, v6, v4
	v_add_f16_e32 v5, v49, v5
	v_add_f16_e32 v124, v124, v125
	v_fma_f16 v125, v61, s5, v62
	v_add_f16_e32 v59, v59, v12
	v_fma_f16 v62, v52, s5, -v76
	v_add_f16_e32 v17, v17, v22
	v_fma_f16 v22, v55, s4, -v57
	v_add_f16_e32 v4, v7, v4
	v_add_f16_e32 v5, v43, v5
	v_mov_b32_e32 v6, s3
	v_add_co_u32_e32 v7, vcc, s2, v0
	v_add_f16_e32 v59, v59, v62
	v_fma_f16 v62, v55, s12, -v77
	v_add_f16_e32 v17, v17, v22
	v_fma_f16 v22, v58, s5, -v60
	v_add_f16_e32 v5, v41, v5
	v_addc_co_u32_e32 v6, vcc, v6, v1, vcc
	v_lshlrev_b64 v[0:1], 2, v[2:3]
	v_add_f16_e32 v59, v59, v62
	v_fma_f16 v62, v58, s11, -v78
	v_add_f16_e32 v17, v17, v22
	v_fma_f16 v22, v61, s11, -v63
	v_add_f16_e32 v5, v39, v5
	v_add_f16_e32 v59, v59, v62
	v_fma_f16 v62, v61, s4, -v79
	v_add_f16_e32 v17, v17, v22
	v_fma_f16 v22, v64, s12, -v66
	v_add_f16_e32 v5, v33, v5
	v_add_co_u32_e32 v0, vcc, v7, v0
	v_add_f16_e32 v59, v59, v62
	v_fma_f16 v62, v64, s0, -v80
	v_add_f16_e32 v17, v17, v22
	v_addc_co_u32_e32 v1, vcc, v6, v1, vcc
	v_pack_b32_f16 v2, v4, v5
	v_add_f16_e32 v59, v59, v62
	global_store_dword v[0:1], v2, off
	v_pack_b32_f16 v2, v17, v16
	global_store_dword v[0:1], v2, off offset:624
	v_pack_b32_f16 v2, v59, v56
	global_store_dword v[0:1], v2, off offset:1248
	;; [unrolled: 2-line block ×4, first 2 shown]
	v_pack_b32_f16 v2, v35, v15
	v_add_f16_e32 v124, v124, v125
	v_fma_f16 v125, v64, s4, v65
	global_store_dword v[0:1], v2, off offset:3120
	v_pack_b32_f16 v2, v14, v13
	v_add_f16_e32 v124, v124, v125
	global_store_dword v[0:1], v2, off offset:3744
	v_add_co_u32_e32 v0, vcc, 0x1000, v0
	v_pack_b32_f16 v2, v124, v123
	v_addc_co_u32_e32 v1, vcc, 0, v1, vcc
	global_store_dword v[0:1], v2, off offset:272
	v_pack_b32_f16 v2, v117, v110
	global_store_dword v[0:1], v2, off offset:896
	v_pack_b32_f16 v2, v103, v96
	;; [unrolled: 2-line block ×5, first 2 shown]
	global_store_dword v[0:1], v2, off offset:3392
.LBB0_21:
	s_endpgm
	.section	.rodata,"a",@progbits
	.p2align	6, 0x0
	.amdhsa_kernel fft_rtc_fwd_len2028_factors_13_4_3_13_wgs_156_tpt_156_half_ip_CI_unitstride_sbrr_dirReg
		.amdhsa_group_segment_fixed_size 0
		.amdhsa_private_segment_fixed_size 0
		.amdhsa_kernarg_size 88
		.amdhsa_user_sgpr_count 6
		.amdhsa_user_sgpr_private_segment_buffer 1
		.amdhsa_user_sgpr_dispatch_ptr 0
		.amdhsa_user_sgpr_queue_ptr 0
		.amdhsa_user_sgpr_kernarg_segment_ptr 1
		.amdhsa_user_sgpr_dispatch_id 0
		.amdhsa_user_sgpr_flat_scratch_init 0
		.amdhsa_user_sgpr_private_segment_size 0
		.amdhsa_uses_dynamic_stack 0
		.amdhsa_system_sgpr_private_segment_wavefront_offset 0
		.amdhsa_system_sgpr_workgroup_id_x 1
		.amdhsa_system_sgpr_workgroup_id_y 0
		.amdhsa_system_sgpr_workgroup_id_z 0
		.amdhsa_system_sgpr_workgroup_info 0
		.amdhsa_system_vgpr_workitem_id 0
		.amdhsa_next_free_vgpr 126
		.amdhsa_next_free_sgpr 22
		.amdhsa_reserve_vcc 1
		.amdhsa_reserve_flat_scratch 0
		.amdhsa_float_round_mode_32 0
		.amdhsa_float_round_mode_16_64 0
		.amdhsa_float_denorm_mode_32 3
		.amdhsa_float_denorm_mode_16_64 3
		.amdhsa_dx10_clamp 1
		.amdhsa_ieee_mode 1
		.amdhsa_fp16_overflow 0
		.amdhsa_exception_fp_ieee_invalid_op 0
		.amdhsa_exception_fp_denorm_src 0
		.amdhsa_exception_fp_ieee_div_zero 0
		.amdhsa_exception_fp_ieee_overflow 0
		.amdhsa_exception_fp_ieee_underflow 0
		.amdhsa_exception_fp_ieee_inexact 0
		.amdhsa_exception_int_div_zero 0
	.end_amdhsa_kernel
	.text
.Lfunc_end0:
	.size	fft_rtc_fwd_len2028_factors_13_4_3_13_wgs_156_tpt_156_half_ip_CI_unitstride_sbrr_dirReg, .Lfunc_end0-fft_rtc_fwd_len2028_factors_13_4_3_13_wgs_156_tpt_156_half_ip_CI_unitstride_sbrr_dirReg
                                        ; -- End function
	.section	.AMDGPU.csdata,"",@progbits
; Kernel info:
; codeLenInByte = 10768
; NumSgprs: 26
; NumVgprs: 126
; ScratchSize: 0
; MemoryBound: 0
; FloatMode: 240
; IeeeMode: 1
; LDSByteSize: 0 bytes/workgroup (compile time only)
; SGPRBlocks: 3
; VGPRBlocks: 31
; NumSGPRsForWavesPerEU: 26
; NumVGPRsForWavesPerEU: 126
; Occupancy: 2
; WaveLimiterHint : 1
; COMPUTE_PGM_RSRC2:SCRATCH_EN: 0
; COMPUTE_PGM_RSRC2:USER_SGPR: 6
; COMPUTE_PGM_RSRC2:TRAP_HANDLER: 0
; COMPUTE_PGM_RSRC2:TGID_X_EN: 1
; COMPUTE_PGM_RSRC2:TGID_Y_EN: 0
; COMPUTE_PGM_RSRC2:TGID_Z_EN: 0
; COMPUTE_PGM_RSRC2:TIDIG_COMP_CNT: 0
	.type	__hip_cuid_620cb933babf3eb3,@object ; @__hip_cuid_620cb933babf3eb3
	.section	.bss,"aw",@nobits
	.globl	__hip_cuid_620cb933babf3eb3
__hip_cuid_620cb933babf3eb3:
	.byte	0                               ; 0x0
	.size	__hip_cuid_620cb933babf3eb3, 1

	.ident	"AMD clang version 19.0.0git (https://github.com/RadeonOpenCompute/llvm-project roc-6.4.0 25133 c7fe45cf4b819c5991fe208aaa96edf142730f1d)"
	.section	".note.GNU-stack","",@progbits
	.addrsig
	.addrsig_sym __hip_cuid_620cb933babf3eb3
	.amdgpu_metadata
---
amdhsa.kernels:
  - .args:
      - .actual_access:  read_only
        .address_space:  global
        .offset:         0
        .size:           8
        .value_kind:     global_buffer
      - .offset:         8
        .size:           8
        .value_kind:     by_value
      - .actual_access:  read_only
        .address_space:  global
        .offset:         16
        .size:           8
        .value_kind:     global_buffer
      - .actual_access:  read_only
        .address_space:  global
        .offset:         24
        .size:           8
        .value_kind:     global_buffer
      - .offset:         32
        .size:           8
        .value_kind:     by_value
      - .actual_access:  read_only
        .address_space:  global
        .offset:         40
        .size:           8
        .value_kind:     global_buffer
      - .actual_access:  read_only
        .address_space:  global
        .offset:         48
        .size:           8
        .value_kind:     global_buffer
      - .offset:         56
        .size:           4
        .value_kind:     by_value
      - .actual_access:  read_only
        .address_space:  global
        .offset:         64
        .size:           8
        .value_kind:     global_buffer
      - .actual_access:  read_only
        .address_space:  global
        .offset:         72
        .size:           8
        .value_kind:     global_buffer
      - .address_space:  global
        .offset:         80
        .size:           8
        .value_kind:     global_buffer
    .group_segment_fixed_size: 0
    .kernarg_segment_align: 8
    .kernarg_segment_size: 88
    .language:       OpenCL C
    .language_version:
      - 2
      - 0
    .max_flat_workgroup_size: 156
    .name:           fft_rtc_fwd_len2028_factors_13_4_3_13_wgs_156_tpt_156_half_ip_CI_unitstride_sbrr_dirReg
    .private_segment_fixed_size: 0
    .sgpr_count:     26
    .sgpr_spill_count: 0
    .symbol:         fft_rtc_fwd_len2028_factors_13_4_3_13_wgs_156_tpt_156_half_ip_CI_unitstride_sbrr_dirReg.kd
    .uniform_work_group_size: 1
    .uses_dynamic_stack: false
    .vgpr_count:     126
    .vgpr_spill_count: 0
    .wavefront_size: 64
amdhsa.target:   amdgcn-amd-amdhsa--gfx906
amdhsa.version:
  - 1
  - 2
...

	.end_amdgpu_metadata
